;; amdgpu-corpus repo=ROCm/rocFFT kind=compiled arch=gfx950 opt=O3
	.text
	.amdgcn_target "amdgcn-amd-amdhsa--gfx950"
	.amdhsa_code_object_version 6
	.protected	fft_rtc_fwd_len972_factors_3_6_3_6_3_wgs_162_tpt_162_halfLds_dp_op_CI_CI_unitstride_sbrr_dirReg ; -- Begin function fft_rtc_fwd_len972_factors_3_6_3_6_3_wgs_162_tpt_162_halfLds_dp_op_CI_CI_unitstride_sbrr_dirReg
	.globl	fft_rtc_fwd_len972_factors_3_6_3_6_3_wgs_162_tpt_162_halfLds_dp_op_CI_CI_unitstride_sbrr_dirReg
	.p2align	8
	.type	fft_rtc_fwd_len972_factors_3_6_3_6_3_wgs_162_tpt_162_halfLds_dp_op_CI_CI_unitstride_sbrr_dirReg,@function
fft_rtc_fwd_len972_factors_3_6_3_6_3_wgs_162_tpt_162_halfLds_dp_op_CI_CI_unitstride_sbrr_dirReg: ; @fft_rtc_fwd_len972_factors_3_6_3_6_3_wgs_162_tpt_162_halfLds_dp_op_CI_CI_unitstride_sbrr_dirReg
; %bb.0:
	s_load_dwordx4 s[4:7], s[0:1], 0x58
	s_load_dwordx4 s[8:11], s[0:1], 0x0
	;; [unrolled: 1-line block ×3, first 2 shown]
	v_mul_u32_u24_e32 v1, 0x195, v0
	v_add_u32_sdwa v6, s2, v1 dst_sel:DWORD dst_unused:UNUSED_PAD src0_sel:DWORD src1_sel:WORD_1
	v_mov_b32_e32 v2, 0
	s_waitcnt lgkmcnt(0)
	v_cmp_lt_u64_e64 s[2:3], s[10:11], 2
	v_mov_b32_e32 v7, v2
	s_and_b64 vcc, exec, s[2:3]
	v_mov_b64_e32 v[4:5], 0
	s_cbranch_vccnz .LBB0_8
; %bb.1:
	s_load_dwordx2 s[2:3], s[0:1], 0x10
	s_add_u32 s16, s14, 8
	s_addc_u32 s17, s15, 0
	s_add_u32 s18, s12, 8
	s_addc_u32 s19, s13, 0
	s_waitcnt lgkmcnt(0)
	s_add_u32 s20, s2, 8
	v_mov_b64_e32 v[4:5], 0
	s_addc_u32 s21, s3, 0
	s_mov_b64 s[22:23], 1
	v_mov_b64_e32 v[24:25], v[4:5]
.LBB0_2:                                ; =>This Inner Loop Header: Depth=1
	s_load_dwordx2 s[24:25], s[20:21], 0x0
                                        ; implicit-def: $vgpr26_vgpr27
	s_waitcnt lgkmcnt(0)
	v_or_b32_e32 v3, s25, v7
	v_cmp_ne_u64_e32 vcc, 0, v[2:3]
	s_and_saveexec_b64 s[2:3], vcc
	s_xor_b64 s[26:27], exec, s[2:3]
	s_cbranch_execz .LBB0_4
; %bb.3:                                ;   in Loop: Header=BB0_2 Depth=1
	v_cvt_f32_u32_e32 v1, s24
	v_cvt_f32_u32_e32 v3, s25
	s_sub_u32 s2, 0, s24
	s_subb_u32 s3, 0, s25
	v_fmac_f32_e32 v1, 0x4f800000, v3
	v_rcp_f32_e32 v1, v1
	s_nop 0
	v_mul_f32_e32 v1, 0x5f7ffffc, v1
	v_mul_f32_e32 v3, 0x2f800000, v1
	v_trunc_f32_e32 v3, v3
	v_fmac_f32_e32 v1, 0xcf800000, v3
	v_cvt_u32_f32_e32 v3, v3
	v_cvt_u32_f32_e32 v1, v1
	v_mul_lo_u32 v8, s2, v3
	v_mul_hi_u32 v10, s2, v1
	v_mul_lo_u32 v9, s3, v1
	v_add_u32_e32 v10, v10, v8
	v_mul_lo_u32 v12, s2, v1
	v_add_u32_e32 v13, v10, v9
	v_mul_hi_u32 v8, v1, v12
	v_mul_hi_u32 v11, v1, v13
	v_mul_lo_u32 v10, v1, v13
	v_mov_b32_e32 v9, v2
	v_lshl_add_u64 v[8:9], v[8:9], 0, v[10:11]
	v_mul_hi_u32 v11, v3, v12
	v_mul_lo_u32 v12, v3, v12
	v_add_co_u32_e32 v8, vcc, v8, v12
	v_mul_hi_u32 v10, v3, v13
	s_nop 0
	v_addc_co_u32_e32 v8, vcc, v9, v11, vcc
	v_mov_b32_e32 v9, v2
	s_nop 0
	v_addc_co_u32_e32 v11, vcc, 0, v10, vcc
	v_mul_lo_u32 v10, v3, v13
	v_lshl_add_u64 v[8:9], v[8:9], 0, v[10:11]
	v_add_co_u32_e32 v1, vcc, v1, v8
	v_mul_lo_u32 v10, s2, v1
	s_nop 0
	v_addc_co_u32_e32 v3, vcc, v3, v9, vcc
	v_mul_lo_u32 v8, s2, v3
	v_mul_hi_u32 v9, s2, v1
	v_add_u32_e32 v8, v9, v8
	v_mul_lo_u32 v9, s3, v1
	v_add_u32_e32 v12, v8, v9
	v_mul_hi_u32 v14, v3, v10
	v_mul_lo_u32 v15, v3, v10
	v_mul_hi_u32 v9, v1, v12
	v_mul_lo_u32 v8, v1, v12
	v_mul_hi_u32 v10, v1, v10
	v_mov_b32_e32 v11, v2
	v_lshl_add_u64 v[8:9], v[10:11], 0, v[8:9]
	v_add_co_u32_e32 v8, vcc, v8, v15
	v_mul_hi_u32 v13, v3, v12
	s_nop 0
	v_addc_co_u32_e32 v8, vcc, v9, v14, vcc
	v_mul_lo_u32 v10, v3, v12
	s_nop 0
	v_addc_co_u32_e32 v11, vcc, 0, v13, vcc
	v_mov_b32_e32 v9, v2
	v_lshl_add_u64 v[8:9], v[8:9], 0, v[10:11]
	v_add_co_u32_e32 v1, vcc, v1, v8
	v_mul_hi_u32 v10, v6, v1
	s_nop 0
	v_addc_co_u32_e32 v3, vcc, v3, v9, vcc
	v_mad_u64_u32 v[8:9], s[2:3], v6, v3, 0
	v_mov_b32_e32 v11, v2
	v_lshl_add_u64 v[8:9], v[10:11], 0, v[8:9]
	v_mad_u64_u32 v[12:13], s[2:3], v7, v1, 0
	v_add_co_u32_e32 v1, vcc, v8, v12
	v_mad_u64_u32 v[10:11], s[2:3], v7, v3, 0
	s_nop 0
	v_addc_co_u32_e32 v8, vcc, v9, v13, vcc
	v_mov_b32_e32 v9, v2
	s_nop 0
	v_addc_co_u32_e32 v11, vcc, 0, v11, vcc
	v_lshl_add_u64 v[8:9], v[8:9], 0, v[10:11]
	v_mul_lo_u32 v1, s25, v8
	v_mul_lo_u32 v3, s24, v9
	v_mad_u64_u32 v[10:11], s[2:3], s24, v8, 0
	v_add3_u32 v1, v11, v3, v1
	v_sub_u32_e32 v3, v7, v1
	v_mov_b32_e32 v11, s25
	v_sub_co_u32_e32 v14, vcc, v6, v10
	v_lshl_add_u64 v[12:13], v[8:9], 0, 1
	s_nop 0
	v_subb_co_u32_e64 v3, s[2:3], v3, v11, vcc
	v_subrev_co_u32_e64 v10, s[2:3], s24, v14
	v_subb_co_u32_e32 v1, vcc, v7, v1, vcc
	s_nop 0
	v_subbrev_co_u32_e64 v3, s[2:3], 0, v3, s[2:3]
	v_cmp_le_u32_e64 s[2:3], s25, v3
	v_cmp_le_u32_e32 vcc, s25, v1
	s_nop 0
	v_cndmask_b32_e64 v11, 0, -1, s[2:3]
	v_cmp_le_u32_e64 s[2:3], s24, v10
	s_nop 1
	v_cndmask_b32_e64 v10, 0, -1, s[2:3]
	v_cmp_eq_u32_e64 s[2:3], s25, v3
	s_nop 1
	v_cndmask_b32_e64 v3, v11, v10, s[2:3]
	v_lshl_add_u64 v[10:11], v[8:9], 0, 2
	v_cmp_ne_u32_e64 s[2:3], 0, v3
	s_nop 1
	v_cndmask_b32_e64 v3, v13, v11, s[2:3]
	v_cndmask_b32_e64 v11, 0, -1, vcc
	v_cmp_le_u32_e32 vcc, s24, v14
	s_nop 1
	v_cndmask_b32_e64 v13, 0, -1, vcc
	v_cmp_eq_u32_e32 vcc, s25, v1
	s_nop 1
	v_cndmask_b32_e32 v1, v11, v13, vcc
	v_cmp_ne_u32_e32 vcc, 0, v1
	v_cndmask_b32_e64 v1, v12, v10, s[2:3]
	s_nop 0
	v_cndmask_b32_e32 v27, v9, v3, vcc
	v_cndmask_b32_e32 v26, v8, v1, vcc
.LBB0_4:                                ;   in Loop: Header=BB0_2 Depth=1
	s_andn2_saveexec_b64 s[2:3], s[26:27]
	s_cbranch_execz .LBB0_6
; %bb.5:                                ;   in Loop: Header=BB0_2 Depth=1
	v_cvt_f32_u32_e32 v1, s24
	s_sub_i32 s26, 0, s24
	v_mov_b32_e32 v27, v2
	v_rcp_iflag_f32_e32 v1, v1
	s_nop 0
	v_mul_f32_e32 v1, 0x4f7ffffe, v1
	v_cvt_u32_f32_e32 v1, v1
	v_mul_lo_u32 v3, s26, v1
	v_mul_hi_u32 v3, v1, v3
	v_add_u32_e32 v1, v1, v3
	v_mul_hi_u32 v1, v6, v1
	v_mul_lo_u32 v3, v1, s24
	v_sub_u32_e32 v3, v6, v3
	v_add_u32_e32 v8, 1, v1
	v_subrev_u32_e32 v9, s24, v3
	v_cmp_le_u32_e32 vcc, s24, v3
	s_nop 1
	v_cndmask_b32_e32 v3, v3, v9, vcc
	v_cndmask_b32_e32 v1, v1, v8, vcc
	v_add_u32_e32 v8, 1, v1
	v_cmp_le_u32_e32 vcc, s24, v3
	s_nop 1
	v_cndmask_b32_e32 v26, v1, v8, vcc
.LBB0_6:                                ;   in Loop: Header=BB0_2 Depth=1
	s_or_b64 exec, exec, s[2:3]
	v_mad_u64_u32 v[8:9], s[2:3], v26, s24, 0
	s_load_dwordx2 s[2:3], s[18:19], 0x0
	v_mul_lo_u32 v1, v27, s24
	v_mul_lo_u32 v3, v26, s25
	s_load_dwordx2 s[24:25], s[16:17], 0x0
	s_add_u32 s22, s22, 1
	v_add3_u32 v1, v9, v3, v1
	v_sub_co_u32_e32 v3, vcc, v6, v8
	s_addc_u32 s23, s23, 0
	s_nop 0
	v_subb_co_u32_e32 v1, vcc, v7, v1, vcc
	s_add_u32 s16, s16, 8
	s_waitcnt lgkmcnt(0)
	v_mul_lo_u32 v6, s2, v1
	v_mul_lo_u32 v7, s3, v3
	v_mad_u64_u32 v[4:5], s[2:3], s2, v3, v[4:5]
	s_addc_u32 s17, s17, 0
	v_add3_u32 v5, v7, v5, v6
	v_mul_lo_u32 v1, s24, v1
	v_mul_lo_u32 v6, s25, v3
	v_mad_u64_u32 v[24:25], s[2:3], s24, v3, v[24:25]
	s_add_u32 s18, s18, 8
	v_add3_u32 v25, v6, v25, v1
	s_addc_u32 s19, s19, 0
	v_mov_b64_e32 v[6:7], s[10:11]
	s_add_u32 s20, s20, 8
	v_cmp_ge_u64_e32 vcc, s[22:23], v[6:7]
	s_addc_u32 s21, s21, 0
	s_cbranch_vccnz .LBB0_9
; %bb.7:                                ;   in Loop: Header=BB0_2 Depth=1
	v_mov_b64_e32 v[6:7], v[26:27]
	s_branch .LBB0_2
.LBB0_8:
	v_mov_b64_e32 v[24:25], v[4:5]
	v_mov_b64_e32 v[26:27], v[6:7]
.LBB0_9:
	s_load_dwordx2 s[18:19], s[0:1], 0x28
	s_lshl_b64 s[16:17], s[10:11], 3
	s_add_u32 s2, s14, s16
	s_addc_u32 s3, s15, s17
                                        ; implicit-def: $vgpr28
	s_waitcnt lgkmcnt(0)
	v_cmp_gt_u64_e64 s[0:1], s[18:19], v[26:27]
	v_cmp_le_u64_e32 vcc, s[18:19], v[26:27]
	s_and_saveexec_b64 s[10:11], vcc
	s_xor_b64 s[10:11], exec, s[10:11]
; %bb.10:
	s_mov_b32 s14, 0x1948b10
	v_mul_hi_u32 v1, v0, s14
	v_mul_u32_u24_e32 v1, 0xa2, v1
	v_sub_u32_e32 v28, v0, v1
                                        ; implicit-def: $vgpr0
                                        ; implicit-def: $vgpr4_vgpr5
; %bb.11:
	s_or_saveexec_b64 s[10:11], s[10:11]
                                        ; implicit-def: $vgpr14_vgpr15
                                        ; implicit-def: $vgpr10_vgpr11
                                        ; implicit-def: $vgpr6_vgpr7
                                        ; implicit-def: $vgpr22_vgpr23
                                        ; implicit-def: $vgpr18_vgpr19
                                        ; implicit-def: $vgpr2_vgpr3
	s_xor_b64 exec, exec, s[10:11]
	s_cbranch_execz .LBB0_13
; %bb.12:
	s_add_u32 s12, s12, s16
	s_addc_u32 s13, s13, s17
	s_load_dwordx2 s[12:13], s[12:13], 0x0
	s_mov_b32 s14, 0x1948b10
	s_waitcnt lgkmcnt(0)
	v_mul_lo_u32 v1, s13, v26
	v_mul_lo_u32 v6, s12, v27
	v_mad_u64_u32 v[2:3], s[12:13], s12, v26, 0
	v_add3_u32 v3, v3, v6, v1
	v_mul_hi_u32 v1, v0, s14
	v_mul_u32_u24_e32 v1, 0xa2, v1
	v_sub_u32_e32 v28, v0, v1
	v_lshl_add_u64 v[0:1], v[2:3], 4, s[4:5]
	v_lshl_add_u64 v[0:1], v[4:5], 4, v[0:1]
	v_lshlrev_b32_e32 v2, 4, v28
	v_mov_b32_e32 v3, 0
	v_lshl_add_u64 v[12:13], v[0:1], 0, v[2:3]
	s_movk_i32 s4, 0x1000
	v_add_co_u32_e32 v14, vcc, s4, v12
	s_movk_i32 s4, 0x2000
	s_nop 0
	v_addc_co_u32_e32 v15, vcc, 0, v13, vcc
	v_add_co_u32_e32 v30, vcc, s4, v12
	global_load_dwordx4 v[0:3], v[12:13], off
	global_load_dwordx4 v[4:7], v[12:13], off offset:2592
	global_load_dwordx4 v[16:19], v[14:15], off offset:1088
	;; [unrolled: 1-line block ×3, first 2 shown]
	v_addc_co_u32_e32 v31, vcc, 0, v13, vcc
	v_add_co_u32_e32 v32, vcc, 0x3000, v12
	s_nop 1
	v_addc_co_u32_e32 v33, vcc, 0, v13, vcc
	global_load_dwordx4 v[20:23], v[30:31], off offset:2176
	global_load_dwordx4 v[12:15], v[32:33], off offset:672
.LBB0_13:
	s_or_b64 exec, exec, s[10:11]
	s_load_dwordx2 s[10:11], s[2:3], 0x0
	s_waitcnt vmcnt(1)
	v_add_f64 v[32:33], v[20:21], v[16:17]
	s_mov_b32 s2, 0xe8584caa
	v_add_f64 v[30:31], v[16:17], v[0:1]
	v_fmac_f64_e32 v[0:1], -0.5, v[32:33]
	v_add_f64 v[32:33], v[18:19], -v[22:23]
	s_mov_b32 s3, 0x3febb67a
	s_mov_b32 s5, 0xbfebb67a
	;; [unrolled: 1-line block ×3, first 2 shown]
	v_fma_f64 v[34:35], s[2:3], v[32:33], v[0:1]
	v_fmac_f64_e32 v[0:1], s[4:5], v[32:33]
	v_add_f64 v[32:33], v[18:19], v[2:3]
	v_add_f64 v[18:19], v[22:23], v[18:19]
	v_fmac_f64_e32 v[2:3], -0.5, v[18:19]
	v_add_f64 v[16:17], v[16:17], -v[20:21]
	s_waitcnt vmcnt(0)
	v_add_f64 v[18:19], v[12:13], v[8:9]
	v_fma_f64 v[36:37], s[4:5], v[16:17], v[2:3]
	v_fmac_f64_e32 v[2:3], s[2:3], v[16:17]
	v_add_f64 v[16:17], v[8:9], v[4:5]
	v_fmac_f64_e32 v[4:5], -0.5, v[18:19]
	v_add_f64 v[18:19], v[10:11], -v[14:15]
	v_add_f64 v[30:31], v[20:21], v[30:31]
	v_fma_f64 v[20:21], s[2:3], v[18:19], v[4:5]
	v_fmac_f64_e32 v[4:5], s[4:5], v[18:19]
	v_add_f64 v[18:19], v[10:11], v[6:7]
	v_add_f64 v[38:39], v[14:15], v[18:19]
	;; [unrolled: 1-line block ×3, first 2 shown]
	v_mad_u32_u24 v14, v28, 24, 0
	v_lshlrev_b32_e32 v15, 4, v28
	v_add_f64 v[16:17], v[12:13], v[16:17]
	v_fmac_f64_e32 v[6:7], -0.5, v[10:11]
	v_add_f64 v[8:9], v[8:9], -v[12:13]
	ds_write2_b64 v14, v[30:31], v[34:35] offset1:1
	ds_write_b64 v14, v[0:1] offset:16
	v_add_u32_e32 v1, 0xf30, v14
	v_sub_u32_e32 v0, v14, v15
	v_add_f64 v[32:33], v[22:23], v[32:33]
	v_fma_f64 v[40:41], s[4:5], v[8:9], v[6:7]
	v_fmac_f64_e32 v[6:7], s[2:3], v[8:9]
	ds_write2_b64 v1, v[16:17], v[20:21] offset1:1
	ds_write_b64 v14, v[4:5] offset:3904
	v_add_u32_e32 v4, 0x800, v0
	v_add_u32_e32 v8, 0x1400, v0
	s_movk_i32 s12, 0xab
	s_waitcnt lgkmcnt(0)
	s_barrier
	ds_read2_b64 v[10:13], v0 offset1:162
	ds_read2_b64 v[16:19], v4 offset0:68 offset1:230
	ds_read2_b64 v[20:23], v8 offset0:8 offset1:170
	s_waitcnt lgkmcnt(0)
	s_barrier
	ds_write2_b64 v14, v[32:33], v[36:37] offset1:1
	ds_write_b64 v14, v[2:3] offset:16
	ds_write2_b64 v1, v[38:39], v[40:41] offset1:1
	ds_write_b64 v14, v[6:7] offset:3904
	v_mul_lo_u16_sdwa v1, v28, s12 dst_sel:DWORD dst_unused:UNUSED_PAD src0_sel:BYTE_0 src1_sel:DWORD
	v_lshrrev_b16_e32 v1, 9, v1
	v_mul_lo_u16_e32 v2, 3, v1
	v_sub_u16_e32 v5, v28, v2
	v_mov_b32_e32 v9, 5
	v_mul_u32_u24_sdwa v2, v5, v9 dst_sel:DWORD dst_unused:UNUSED_PAD src0_sel:BYTE_0 src1_sel:DWORD
	v_lshlrev_b32_e32 v2, 4, v2
	s_waitcnt lgkmcnt(0)
	s_barrier
	global_load_dwordx4 v[30:33], v2, s[8:9]
	global_load_dwordx4 v[34:37], v2, s[8:9] offset:16
	global_load_dwordx4 v[38:41], v2, s[8:9] offset:32
	;; [unrolled: 1-line block ×4, first 2 shown]
	ds_read2_b64 v[50:53], v0 offset1:162
	ds_read2_b64 v[54:57], v4 offset0:68 offset1:230
	ds_read2_b64 v[58:61], v8 offset0:8 offset1:170
	v_mov_b32_e32 v29, 3
	v_mul_u32_u24_e32 v1, 0x90, v1
	v_lshlrev_b32_sdwa v5, v29, v5 dst_sel:DWORD dst_unused:UNUSED_PAD src0_sel:DWORD src1_sel:BYTE_0
	v_add3_u32 v1, 0, v1, v5
	s_waitcnt lgkmcnt(0)
	s_barrier
	s_mov_b32 s12, 0xe38f
	s_waitcnt vmcnt(4)
	v_mul_f64 v[2:3], v[52:53], v[32:33]
	v_mul_f64 v[6:7], v[12:13], v[32:33]
	s_waitcnt vmcnt(3)
	v_mul_f64 v[32:33], v[54:55], v[36:37]
	v_fma_f64 v[2:3], v[12:13], v[30:31], -v[2:3]
	v_mul_f64 v[12:13], v[16:17], v[36:37]
	v_fmac_f64_e32 v[6:7], v[52:53], v[30:31]
	s_waitcnt vmcnt(2)
	v_mul_f64 v[30:31], v[56:57], v[40:41]
	v_fma_f64 v[16:17], v[16:17], v[34:35], -v[32:33]
	v_fmac_f64_e32 v[12:13], v[54:55], v[34:35]
	s_waitcnt vmcnt(1)
	v_mul_f64 v[34:35], v[58:59], v[44:45]
	v_mul_f64 v[32:33], v[18:19], v[40:41]
	v_fma_f64 v[18:19], v[18:19], v[38:39], -v[30:31]
	v_fma_f64 v[30:31], v[20:21], v[42:43], -v[34:35]
	v_mul_f64 v[20:21], v[20:21], v[44:45]
	v_fmac_f64_e32 v[32:33], v[56:57], v[38:39]
	v_fmac_f64_e32 v[20:21], v[58:59], v[42:43]
	v_add_f64 v[38:39], v[16:17], v[30:31]
	s_waitcnt vmcnt(0)
	v_mul_f64 v[34:35], v[60:61], v[48:49]
	v_add_f64 v[36:37], v[10:11], v[16:17]
	v_fmac_f64_e32 v[10:11], -0.5, v[38:39]
	v_add_f64 v[38:39], v[12:13], -v[20:21]
	v_fma_f64 v[34:35], v[22:23], v[46:47], -v[34:35]
	v_mul_f64 v[22:23], v[22:23], v[48:49]
	v_fma_f64 v[40:41], s[2:3], v[38:39], v[10:11]
	v_fmac_f64_e32 v[10:11], s[4:5], v[38:39]
	v_add_f64 v[38:39], v[50:51], v[12:13]
	v_add_f64 v[12:13], v[12:13], v[20:21]
	v_fmac_f64_e32 v[22:23], v[60:61], v[46:47]
	v_add_f64 v[38:39], v[38:39], v[20:21]
	v_fmac_f64_e32 v[50:51], -0.5, v[12:13]
	v_add_f64 v[12:13], v[16:17], -v[30:31]
	v_add_f64 v[20:21], v[18:19], v[34:35]
	v_fma_f64 v[16:17], s[4:5], v[12:13], v[50:51]
	v_fmac_f64_e32 v[50:51], s[2:3], v[12:13]
	v_add_f64 v[12:13], v[2:3], v[18:19]
	v_fmac_f64_e32 v[2:3], -0.5, v[20:21]
	v_add_f64 v[20:21], v[32:33], -v[22:23]
	v_add_f64 v[36:37], v[36:37], v[30:31]
	v_fma_f64 v[30:31], s[2:3], v[20:21], v[2:3]
	v_fmac_f64_e32 v[2:3], s[4:5], v[20:21]
	v_add_f64 v[20:21], v[6:7], v[32:33]
	v_add_f64 v[20:21], v[20:21], v[22:23]
	;; [unrolled: 1-line block ×3, first 2 shown]
	v_fmac_f64_e32 v[6:7], -0.5, v[22:23]
	v_add_f64 v[18:19], v[18:19], -v[34:35]
	v_fma_f64 v[22:23], s[4:5], v[18:19], v[6:7]
	v_mul_f64 v[32:33], v[22:23], s[2:3]
	v_fmac_f64_e32 v[6:7], s[2:3], v[18:19]
	v_fmac_f64_e32 v[32:33], 0.5, v[30:31]
	v_mul_f64 v[42:43], v[2:3], -0.5
	v_mul_f64 v[30:31], v[30:31], s[4:5]
	v_add_f64 v[12:13], v[12:13], v[34:35]
	v_fmac_f64_e32 v[42:43], s[2:3], v[6:7]
	v_fmac_f64_e32 v[30:31], 0.5, v[22:23]
	v_mul_f64 v[6:7], v[6:7], -0.5
	v_add_f64 v[18:19], v[36:37], v[12:13]
	v_add_f64 v[34:35], v[40:41], v[32:33]
	;; [unrolled: 1-line block ×4, first 2 shown]
	v_fmac_f64_e32 v[6:7], s[4:5], v[2:3]
	v_add_f64 v[22:23], v[40:41], -v[32:33]
	v_add_f64 v[44:45], v[10:11], v[42:43]
	v_add_f64 v[2:3], v[50:51], v[6:7]
	v_add_f64 v[12:13], v[36:37], -v[12:13]
	v_add_f64 v[10:11], v[10:11], -v[42:43]
	;; [unrolled: 1-line block ×5, first 2 shown]
	ds_write2_b64 v1, v[18:19], v[34:35] offset1:3
	ds_write2_b64 v1, v[44:45], v[12:13] offset0:6 offset1:9
	ds_write2_b64 v1, v[22:23], v[10:11] offset0:12 offset1:15
	s_waitcnt lgkmcnt(0)
	s_barrier
	ds_read2_b64 v[16:19], v0 offset1:162
	ds_read2_b64 v[20:23], v4 offset0:68 offset1:230
	ds_read2_b64 v[30:33], v8 offset0:8 offset1:170
	s_waitcnt lgkmcnt(0)
	s_barrier
	ds_write2_b64 v1, v[46:47], v[48:49] offset1:3
	ds_write2_b64 v1, v[2:3], v[36:37] offset0:6 offset1:9
	ds_write2_b64 v1, v[38:39], v[6:7] offset0:12 offset1:15
	v_mov_b32_e32 v1, 57
	v_mul_lo_u16_sdwa v1, v28, v1 dst_sel:DWORD dst_unused:UNUSED_PAD src0_sel:BYTE_0 src1_sel:DWORD
	v_lshrrev_b16_e32 v1, 10, v1
	v_mul_lo_u16_e32 v2, 18, v1
	v_sub_u16_e32 v5, v28, v2
	v_lshlrev_b32_sdwa v2, v9, v5 dst_sel:DWORD dst_unused:UNUSED_PAD src0_sel:DWORD src1_sel:BYTE_0
	v_add_u32_e32 v12, 0xa2, v28
	s_waitcnt lgkmcnt(0)
	s_barrier
	global_load_dwordx4 v[34:37], v2, s[8:9] offset:256
	global_load_dwordx4 v[38:41], v2, s[8:9] offset:240
	v_mul_u32_u24_sdwa v2, v12, s12 dst_sel:DWORD dst_unused:UNUSED_PAD src0_sel:WORD_0 src1_sel:DWORD
	v_lshrrev_b32_e32 v13, 20, v2
	v_mul_lo_u16_e32 v2, 18, v13
	v_sub_u16_e32 v62, v12, v2
	v_lshlrev_b32_e32 v2, 5, v62
	global_load_dwordx4 v[42:45], v2, s[8:9] offset:240
	global_load_dwordx4 v[46:49], v2, s[8:9] offset:256
	ds_read2_b64 v[50:53], v4 offset0:68 offset1:230
	ds_read2_b64 v[54:57], v0 offset1:162
	ds_read2_b64 v[58:61], v8 offset0:8 offset1:170
	v_mul_u32_u24_e32 v1, 0x1b0, v1
	v_lshlrev_b32_sdwa v5, v29, v5 dst_sel:DWORD dst_unused:UNUSED_PAD src0_sel:DWORD src1_sel:BYTE_0
	v_add3_u32 v1, 0, v1, v5
	v_mul_u32_u24_e32 v5, 0x1b0, v13
	v_lshlrev_b32_e32 v13, 3, v62
	v_add3_u32 v5, 0, v5, v13
	s_waitcnt lgkmcnt(0)
	s_barrier
	s_waitcnt vmcnt(3)
	v_mul_f64 v[10:11], v[58:59], v[36:37]
	s_waitcnt vmcnt(2)
	v_mul_f64 v[2:3], v[50:51], v[40:41]
	v_fma_f64 v[2:3], v[20:21], v[38:39], -v[2:3]
	v_mul_f64 v[6:7], v[20:21], v[40:41]
	v_fma_f64 v[10:11], v[30:31], v[34:35], -v[10:11]
	v_mul_f64 v[20:21], v[30:31], v[36:37]
	v_fmac_f64_e32 v[6:7], v[50:51], v[38:39]
	v_fmac_f64_e32 v[20:21], v[58:59], v[34:35]
	v_add_f64 v[38:39], v[2:3], v[10:11]
	s_waitcnt vmcnt(1)
	v_mul_f64 v[30:31], v[52:53], v[44:45]
	s_waitcnt vmcnt(0)
	v_mul_f64 v[34:35], v[60:61], v[48:49]
	v_add_f64 v[36:37], v[16:17], v[2:3]
	v_fma_f64 v[16:17], -0.5, v[38:39], v[16:17]
	v_add_f64 v[38:39], v[6:7], -v[20:21]
	v_fma_f64 v[30:31], v[22:23], v[42:43], -v[30:31]
	v_mul_f64 v[22:23], v[22:23], v[44:45]
	v_fma_f64 v[34:35], v[32:33], v[46:47], -v[34:35]
	v_mul_f64 v[32:33], v[32:33], v[48:49]
	v_fma_f64 v[40:41], s[2:3], v[38:39], v[16:17]
	v_fmac_f64_e32 v[16:17], s[4:5], v[38:39]
	v_add_f64 v[38:39], v[54:55], v[6:7]
	v_add_f64 v[6:7], v[6:7], v[20:21]
	v_fmac_f64_e32 v[22:23], v[52:53], v[42:43]
	v_fmac_f64_e32 v[32:33], v[60:61], v[46:47]
	v_add_f64 v[38:39], v[38:39], v[20:21]
	v_fma_f64 v[6:7], -0.5, v[6:7], v[54:55]
	v_add_f64 v[2:3], v[2:3], -v[10:11]
	v_add_f64 v[20:21], v[30:31], v[34:35]
	v_add_f64 v[36:37], v[36:37], v[10:11]
	v_fma_f64 v[10:11], s[4:5], v[2:3], v[6:7]
	v_fmac_f64_e32 v[6:7], s[2:3], v[2:3]
	v_add_f64 v[2:3], v[18:19], v[30:31]
	v_fmac_f64_e32 v[18:19], -0.5, v[20:21]
	v_add_f64 v[20:21], v[22:23], -v[32:33]
	v_fma_f64 v[42:43], s[2:3], v[20:21], v[18:19]
	v_fmac_f64_e32 v[18:19], s[4:5], v[20:21]
	v_add_f64 v[20:21], v[56:57], v[22:23]
	v_add_f64 v[44:45], v[20:21], v[32:33]
	;; [unrolled: 1-line block ×4, first 2 shown]
	v_fmac_f64_e32 v[56:57], -0.5, v[20:21]
	v_add_f64 v[20:21], v[30:31], -v[34:35]
	v_fma_f64 v[34:35], s[4:5], v[20:21], v[56:57]
	v_fmac_f64_e32 v[56:57], s[2:3], v[20:21]
	ds_write2_b64 v1, v[36:37], v[40:41] offset1:18
	ds_write_b64 v1, v[16:17] offset:288
	ds_write2_b64 v5, v[2:3], v[42:43] offset1:18
	ds_write_b64 v5, v[18:19] offset:288
	s_waitcnt lgkmcnt(0)
	s_barrier
	ds_read2_b64 v[16:19], v0 offset1:162
	ds_read2_b64 v[20:23], v4 offset0:68 offset1:230
	ds_read2_b64 v[30:33], v8 offset0:8 offset1:170
	s_waitcnt lgkmcnt(0)
	s_barrier
	ds_write2_b64 v1, v[38:39], v[10:11] offset1:18
	ds_write_b64 v1, v[6:7] offset:288
	ds_write2_b64 v5, v[44:45], v[34:35] offset1:18
	ds_write_b64 v5, v[56:57] offset:288
	v_mov_b32_e32 v1, 19
	v_mul_lo_u16_sdwa v1, v28, v1 dst_sel:DWORD dst_unused:UNUSED_PAD src0_sel:BYTE_0 src1_sel:DWORD
	v_lshrrev_b16_e32 v1, 10, v1
	v_mul_lo_u16_e32 v2, 54, v1
	v_sub_u16_e32 v5, v28, v2
	v_mul_u32_u24_sdwa v2, v5, v9 dst_sel:DWORD dst_unused:UNUSED_PAD src0_sel:BYTE_0 src1_sel:DWORD
	v_lshlrev_b32_e32 v2, 4, v2
	s_waitcnt lgkmcnt(0)
	s_barrier
	global_load_dwordx4 v[34:37], v2, s[8:9] offset:816
	global_load_dwordx4 v[38:41], v2, s[8:9] offset:832
	;; [unrolled: 1-line block ×5, first 2 shown]
	ds_read2_b64 v[54:57], v0 offset1:162
	ds_read2_b64 v[58:61], v4 offset0:68 offset1:230
	ds_read2_b64 v[62:65], v8 offset0:8 offset1:170
	v_mul_u32_u24_e32 v1, 0xa20, v1
	v_lshlrev_b32_sdwa v5, v29, v5 dst_sel:DWORD dst_unused:UNUSED_PAD src0_sel:DWORD src1_sel:BYTE_0
	v_add3_u32 v13, 0, v1, v5
	s_waitcnt lgkmcnt(0)
	s_barrier
	s_waitcnt vmcnt(4)
	v_mul_f64 v[2:3], v[56:57], v[36:37]
	v_mul_f64 v[6:7], v[18:19], v[36:37]
	v_fma_f64 v[2:3], v[18:19], v[34:35], -v[2:3]
	v_fmac_f64_e32 v[6:7], v[56:57], v[34:35]
	s_waitcnt vmcnt(3)
	v_mul_f64 v[10:11], v[58:59], v[40:41]
	s_waitcnt vmcnt(1)
	v_mul_f64 v[34:35], v[62:63], v[48:49]
	v_fma_f64 v[10:11], v[20:21], v[38:39], -v[10:11]
	v_mul_f64 v[18:19], v[20:21], v[40:41]
	v_fma_f64 v[34:35], v[30:31], v[46:47], -v[34:35]
	v_mul_f64 v[30:31], v[30:31], v[48:49]
	v_fmac_f64_e32 v[18:19], v[58:59], v[38:39]
	v_mul_f64 v[20:21], v[60:61], v[44:45]
	v_fmac_f64_e32 v[30:31], v[62:63], v[46:47]
	v_add_f64 v[40:41], v[10:11], v[34:35]
	v_fma_f64 v[20:21], v[22:23], v[42:43], -v[20:21]
	v_mul_f64 v[22:23], v[22:23], v[44:45]
	s_waitcnt vmcnt(0)
	v_mul_f64 v[36:37], v[64:65], v[52:53]
	v_add_f64 v[38:39], v[16:17], v[10:11]
	v_fmac_f64_e32 v[16:17], -0.5, v[40:41]
	v_add_f64 v[40:41], v[18:19], -v[30:31]
	v_fmac_f64_e32 v[22:23], v[60:61], v[42:43]
	v_fma_f64 v[36:37], v[32:33], v[50:51], -v[36:37]
	v_mul_f64 v[32:33], v[32:33], v[52:53]
	v_fma_f64 v[42:43], s[2:3], v[40:41], v[16:17]
	v_fmac_f64_e32 v[16:17], s[4:5], v[40:41]
	v_add_f64 v[40:41], v[54:55], v[18:19]
	v_add_f64 v[18:19], v[18:19], v[30:31]
	v_fmac_f64_e32 v[32:33], v[64:65], v[50:51]
	v_add_f64 v[40:41], v[40:41], v[30:31]
	v_fmac_f64_e32 v[54:55], -0.5, v[18:19]
	v_add_f64 v[10:11], v[10:11], -v[34:35]
	v_add_f64 v[30:31], v[20:21], v[36:37]
	v_fma_f64 v[18:19], s[4:5], v[10:11], v[54:55]
	v_fmac_f64_e32 v[54:55], s[2:3], v[10:11]
	v_add_f64 v[10:11], v[2:3], v[20:21]
	v_fmac_f64_e32 v[2:3], -0.5, v[30:31]
	v_add_f64 v[30:31], v[22:23], -v[32:33]
	v_add_f64 v[38:39], v[38:39], v[34:35]
	v_fma_f64 v[34:35], s[2:3], v[30:31], v[2:3]
	v_fmac_f64_e32 v[2:3], s[4:5], v[30:31]
	v_add_f64 v[30:31], v[6:7], v[22:23]
	v_add_f64 v[22:23], v[22:23], v[32:33]
	v_fmac_f64_e32 v[6:7], -0.5, v[22:23]
	v_add_f64 v[20:21], v[20:21], -v[36:37]
	v_fma_f64 v[22:23], s[4:5], v[20:21], v[6:7]
	v_add_f64 v[30:31], v[30:31], v[32:33]
	v_mul_f64 v[32:33], v[22:23], s[2:3]
	v_add_f64 v[10:11], v[10:11], v[36:37]
	v_fmac_f64_e32 v[6:7], s[2:3], v[20:21]
	v_fmac_f64_e32 v[32:33], 0.5, v[34:35]
	v_mul_f64 v[44:45], v[2:3], -0.5
	v_add_f64 v[20:21], v[38:39], v[10:11]
	v_add_f64 v[36:37], v[42:43], v[32:33]
	v_fmac_f64_e32 v[44:45], s[2:3], v[6:7]
	v_mul_f64 v[6:7], v[6:7], -0.5
	v_add_f64 v[46:47], v[16:17], v[44:45]
	v_fmac_f64_e32 v[6:7], s[4:5], v[2:3]
	v_add_f64 v[2:3], v[38:39], -v[10:11]
	v_add_f64 v[10:11], v[42:43], -v[32:33]
	;; [unrolled: 1-line block ×3, first 2 shown]
	ds_write2_b64 v13, v[20:21], v[36:37] offset1:54
	ds_write2_b64 v13, v[46:47], v[2:3] offset0:108 offset1:162
	v_add_u32_e32 v20, 0x400, v13
	v_add_f64 v[50:51], v[54:55], v[6:7]
	v_add_f64 v[32:33], v[54:55], -v[6:7]
	ds_write2_b64 v20, v[10:11], v[16:17] offset0:88 offset1:142
	s_waitcnt lgkmcnt(0)
	s_barrier
	ds_read2_b64 v[0:3], v0 offset1:162
	ds_read2_b64 v[4:7], v4 offset0:68 offset1:230
	ds_read2_b64 v[8:11], v8 offset0:8 offset1:170
	v_mul_f64 v[34:35], v[34:35], s[4:5]
	v_fmac_f64_e32 v[34:35], 0.5, v[22:23]
	v_add_f64 v[48:49], v[40:41], v[30:31]
	v_add_f64 v[22:23], v[18:19], v[34:35]
	v_add_f64 v[30:31], v[40:41], -v[30:31]
	v_add_f64 v[18:19], v[18:19], -v[34:35]
	s_waitcnt lgkmcnt(0)
	s_barrier
	ds_write2_b64 v13, v[48:49], v[22:23] offset1:54
	ds_write2_b64 v13, v[50:51], v[30:31] offset0:108 offset1:162
	ds_write2_b64 v20, v[18:19], v[32:33] offset0:88 offset1:142
	s_waitcnt lgkmcnt(0)
	s_barrier
	s_and_saveexec_b64 s[12:13], s[0:1]
	s_cbranch_execz .LBB0_15
; %bb.14:
	v_lshlrev_b32_e32 v12, 1, v12
	v_mov_b32_e32 v13, 0
	v_lshl_add_u64 v[16:17], v[12:13], 4, s[8:9]
	s_mov_b64 s[12:13], 0x1410
	v_add_co_u32_e32 v32, vcc, 0x1000, v16
	v_lshl_add_u64 v[30:31], v[16:17], 0, s[12:13]
	s_nop 0
	v_addc_co_u32_e32 v33, vcc, 0, v17, vcc
	v_lshlrev_b32_e32 v12, 1, v28
	s_movk_i32 s0, 0x1000
	global_load_dwordx4 v[16:19], v[32:33], off offset:1040
	global_load_dwordx4 v[20:23], v[30:31], off offset:16
	v_lshl_add_u64 v[30:31], v[12:13], 4, s[8:9]
	v_add_co_u32_e32 v40, vcc, s0, v30
	v_lshl_add_u64 v[38:39], v[30:31], 0, s[12:13]
	s_nop 0
	v_addc_co_u32_e32 v41, vcc, 0, v31, vcc
	global_load_dwordx4 v[30:33], v[40:41], off offset:1040
	global_load_dwordx4 v[34:37], v[38:39], off offset:16
	v_sub_u32_e32 v12, 0, v15
	v_mul_lo_u32 v15, s11, v26
	v_mul_lo_u32 v29, s10, v27
	v_mad_u64_u32 v[26:27], s[8:9], s10, v26, 0
	v_add_u32_e32 v12, v14, v12
	v_add3_u32 v27, v27, v29, v15
	v_add_u32_e32 v29, 0x800, v12
	v_add_u32_e32 v46, 0x1400, v12
	ds_read2_b64 v[38:41], v12 offset1:162
	ds_read2_b64 v[42:45], v29 offset0:68 offset1:230
	ds_read2_b64 v[46:49], v46 offset0:8 offset1:170
	s_mov_b32 s1, 0xca4587e7
	v_mul_hi_u32 v14, v28, s1
	v_lshrrev_b32_e32 v12, 8, v14
	v_lshl_add_u64 v[14:15], v[26:27], 4, s[6:7]
	v_mul_u32_u24_e32 v12, 0x144, v12
	v_lshl_add_u64 v[26:27], v[24:25], 4, v[14:15]
	v_sub_u32_e32 v12, v28, v12
	v_lshlrev_b32_e32 v12, 4, v12
	v_lshl_add_u64 v[50:51], v[26:27], 0, v[12:13]
	s_waitcnt vmcnt(3) lgkmcnt(1)
	v_mul_f64 v[14:15], v[44:45], v[18:19]
	s_waitcnt vmcnt(2) lgkmcnt(0)
	v_mul_f64 v[24:25], v[48:49], v[22:23]
	v_mul_f64 v[18:19], v[6:7], v[18:19]
	;; [unrolled: 1-line block ×3, first 2 shown]
	v_fma_f64 v[6:7], v[6:7], v[16:17], -v[14:15]
	v_fmac_f64_e32 v[18:19], v[16:17], v[44:45]
	v_fma_f64 v[10:11], v[10:11], v[20:21], -v[24:25]
	s_waitcnt vmcnt(1)
	v_mul_f64 v[52:53], v[42:43], v[32:33]
	s_waitcnt vmcnt(0)
	v_mul_f64 v[54:55], v[46:47], v[36:37]
	v_mul_f64 v[14:15], v[4:5], v[32:33]
	;; [unrolled: 1-line block ×3, first 2 shown]
	v_fmac_f64_e32 v[22:23], v[20:21], v[48:49]
	v_fma_f64 v[4:5], v[4:5], v[30:31], -v[52:53]
	v_fma_f64 v[24:25], v[8:9], v[34:35], -v[54:55]
	v_fmac_f64_e32 v[14:15], v[30:31], v[42:43]
	v_fmac_f64_e32 v[32:33], v[34:35], v[46:47]
	v_add_f64 v[8:9], v[18:19], v[22:23]
	v_add_f64 v[16:17], v[18:19], v[40:41]
	v_add_f64 v[34:35], v[18:19], -v[22:23]
	v_add_f64 v[18:19], v[14:15], v[32:33]
	v_add_f64 v[44:45], v[4:5], v[24:25]
	v_add_f64 v[30:31], v[6:7], -v[10:11]
	v_add_f64 v[20:21], v[6:7], v[10:11]
	v_add_f64 v[36:37], v[4:5], -v[24:25]
	;; [unrolled: 2-line block ×3, first 2 shown]
	v_add_f64 v[48:49], v[0:1], v[4:5]
	v_fma_f64 v[4:5], -0.5, v[8:9], v[40:41]
	v_add_f64 v[8:9], v[22:23], v[16:17]
	v_fma_f64 v[16:17], -0.5, v[18:19], v[38:39]
	v_fma_f64 v[14:15], -0.5, v[44:45], v[0:1]
	v_add_co_u32_e32 v0, vcc, s0, v50
	v_add_f64 v[6:7], v[2:3], v[6:7]
	v_fma_f64 v[2:3], -0.5, v[20:21], v[2:3]
	v_add_f64 v[20:21], v[42:43], v[32:33]
	v_add_f64 v[18:19], v[48:49], v[24:25]
	v_fma_f64 v[24:25], s[2:3], v[30:31], v[4:5]
	v_fmac_f64_e32 v[4:5], s[4:5], v[30:31]
	v_fma_f64 v[32:33], s[2:3], v[36:37], v[16:17]
	v_fmac_f64_e32 v[16:17], s[4:5], v[36:37]
	;; [unrolled: 2-line block ×3, first 2 shown]
	v_addc_co_u32_e32 v1, vcc, 0, v51, vcc
	s_movk_i32 s0, 0x2000
	global_store_dwordx4 v[0:1], v[14:17], off offset:1088
	v_add_co_u32_e32 v0, vcc, s0, v50
	v_add_f64 v[6:7], v[6:7], v[10:11]
	s_nop 0
	v_addc_co_u32_e32 v1, vcc, 0, v51, vcc
	global_store_dwordx4 v[0:1], v[30:33], off offset:2176
	v_add_u32_e32 v0, 0xa2, v28
	v_mul_hi_u32 v1, v0, s1
	v_lshrrev_b32_e32 v1, 8, v1
	v_mul_u32_u24_e32 v10, 0x144, v1
	v_sub_u32_e32 v0, v0, v10
	s_movk_i32 s0, 0x3cc
	v_mad_u32_u24 v12, v1, s0, v0
	v_lshl_add_u64 v[0:1], v[12:13], 4, v[26:27]
	global_store_dwordx4 v[50:51], v[18:21], off
	global_store_dwordx4 v[0:1], v[6:9], off
	v_add_u32_e32 v0, 0x144, v12
	v_mov_b32_e32 v1, v13
	v_fma_f64 v[22:23], s[4:5], v[34:35], v[2:3]
	v_fmac_f64_e32 v[2:3], s[2:3], v[34:35]
	v_lshl_add_u64 v[0:1], v[0:1], 4, v[26:27]
	v_add_u32_e32 v12, 0x288, v12
	global_store_dwordx4 v[0:1], v[2:5], off
	v_lshl_add_u64 v[0:1], v[12:13], 4, v[26:27]
	global_store_dwordx4 v[0:1], v[22:25], off
.LBB0_15:
	s_endpgm
	.section	.rodata,"a",@progbits
	.p2align	6, 0x0
	.amdhsa_kernel fft_rtc_fwd_len972_factors_3_6_3_6_3_wgs_162_tpt_162_halfLds_dp_op_CI_CI_unitstride_sbrr_dirReg
		.amdhsa_group_segment_fixed_size 0
		.amdhsa_private_segment_fixed_size 0
		.amdhsa_kernarg_size 104
		.amdhsa_user_sgpr_count 2
		.amdhsa_user_sgpr_dispatch_ptr 0
		.amdhsa_user_sgpr_queue_ptr 0
		.amdhsa_user_sgpr_kernarg_segment_ptr 1
		.amdhsa_user_sgpr_dispatch_id 0
		.amdhsa_user_sgpr_kernarg_preload_length 0
		.amdhsa_user_sgpr_kernarg_preload_offset 0
		.amdhsa_user_sgpr_private_segment_size 0
		.amdhsa_uses_dynamic_stack 0
		.amdhsa_enable_private_segment 0
		.amdhsa_system_sgpr_workgroup_id_x 1
		.amdhsa_system_sgpr_workgroup_id_y 0
		.amdhsa_system_sgpr_workgroup_id_z 0
		.amdhsa_system_sgpr_workgroup_info 0
		.amdhsa_system_vgpr_workitem_id 0
		.amdhsa_next_free_vgpr 66
		.amdhsa_next_free_sgpr 28
		.amdhsa_accum_offset 68
		.amdhsa_reserve_vcc 1
		.amdhsa_float_round_mode_32 0
		.amdhsa_float_round_mode_16_64 0
		.amdhsa_float_denorm_mode_32 3
		.amdhsa_float_denorm_mode_16_64 3
		.amdhsa_dx10_clamp 1
		.amdhsa_ieee_mode 1
		.amdhsa_fp16_overflow 0
		.amdhsa_tg_split 0
		.amdhsa_exception_fp_ieee_invalid_op 0
		.amdhsa_exception_fp_denorm_src 0
		.amdhsa_exception_fp_ieee_div_zero 0
		.amdhsa_exception_fp_ieee_overflow 0
		.amdhsa_exception_fp_ieee_underflow 0
		.amdhsa_exception_fp_ieee_inexact 0
		.amdhsa_exception_int_div_zero 0
	.end_amdhsa_kernel
	.text
.Lfunc_end0:
	.size	fft_rtc_fwd_len972_factors_3_6_3_6_3_wgs_162_tpt_162_halfLds_dp_op_CI_CI_unitstride_sbrr_dirReg, .Lfunc_end0-fft_rtc_fwd_len972_factors_3_6_3_6_3_wgs_162_tpt_162_halfLds_dp_op_CI_CI_unitstride_sbrr_dirReg
                                        ; -- End function
	.section	.AMDGPU.csdata,"",@progbits
; Kernel info:
; codeLenInByte = 4676
; NumSgprs: 34
; NumVgprs: 66
; NumAgprs: 0
; TotalNumVgprs: 66
; ScratchSize: 0
; MemoryBound: 1
; FloatMode: 240
; IeeeMode: 1
; LDSByteSize: 0 bytes/workgroup (compile time only)
; SGPRBlocks: 4
; VGPRBlocks: 8
; NumSGPRsForWavesPerEU: 34
; NumVGPRsForWavesPerEU: 66
; AccumOffset: 68
; Occupancy: 7
; WaveLimiterHint : 1
; COMPUTE_PGM_RSRC2:SCRATCH_EN: 0
; COMPUTE_PGM_RSRC2:USER_SGPR: 2
; COMPUTE_PGM_RSRC2:TRAP_HANDLER: 0
; COMPUTE_PGM_RSRC2:TGID_X_EN: 1
; COMPUTE_PGM_RSRC2:TGID_Y_EN: 0
; COMPUTE_PGM_RSRC2:TGID_Z_EN: 0
; COMPUTE_PGM_RSRC2:TIDIG_COMP_CNT: 0
; COMPUTE_PGM_RSRC3_GFX90A:ACCUM_OFFSET: 16
; COMPUTE_PGM_RSRC3_GFX90A:TG_SPLIT: 0
	.text
	.p2alignl 6, 3212836864
	.fill 256, 4, 3212836864
	.type	__hip_cuid_7eb85c18cbee4586,@object ; @__hip_cuid_7eb85c18cbee4586
	.section	.bss,"aw",@nobits
	.globl	__hip_cuid_7eb85c18cbee4586
__hip_cuid_7eb85c18cbee4586:
	.byte	0                               ; 0x0
	.size	__hip_cuid_7eb85c18cbee4586, 1

	.ident	"AMD clang version 19.0.0git (https://github.com/RadeonOpenCompute/llvm-project roc-6.4.0 25133 c7fe45cf4b819c5991fe208aaa96edf142730f1d)"
	.section	".note.GNU-stack","",@progbits
	.addrsig
	.addrsig_sym __hip_cuid_7eb85c18cbee4586
	.amdgpu_metadata
---
amdhsa.kernels:
  - .agpr_count:     0
    .args:
      - .actual_access:  read_only
        .address_space:  global
        .offset:         0
        .size:           8
        .value_kind:     global_buffer
      - .offset:         8
        .size:           8
        .value_kind:     by_value
      - .actual_access:  read_only
        .address_space:  global
        .offset:         16
        .size:           8
        .value_kind:     global_buffer
      - .actual_access:  read_only
        .address_space:  global
        .offset:         24
        .size:           8
        .value_kind:     global_buffer
      - .actual_access:  read_only
        .address_space:  global
        .offset:         32
        .size:           8
        .value_kind:     global_buffer
      - .offset:         40
        .size:           8
        .value_kind:     by_value
      - .actual_access:  read_only
        .address_space:  global
        .offset:         48
        .size:           8
        .value_kind:     global_buffer
      - .actual_access:  read_only
        .address_space:  global
        .offset:         56
        .size:           8
        .value_kind:     global_buffer
      - .offset:         64
        .size:           4
        .value_kind:     by_value
      - .actual_access:  read_only
        .address_space:  global
        .offset:         72
        .size:           8
        .value_kind:     global_buffer
      - .actual_access:  read_only
        .address_space:  global
        .offset:         80
        .size:           8
        .value_kind:     global_buffer
      - .actual_access:  read_only
        .address_space:  global
        .offset:         88
        .size:           8
        .value_kind:     global_buffer
      - .actual_access:  write_only
        .address_space:  global
        .offset:         96
        .size:           8
        .value_kind:     global_buffer
    .group_segment_fixed_size: 0
    .kernarg_segment_align: 8
    .kernarg_segment_size: 104
    .language:       OpenCL C
    .language_version:
      - 2
      - 0
    .max_flat_workgroup_size: 162
    .name:           fft_rtc_fwd_len972_factors_3_6_3_6_3_wgs_162_tpt_162_halfLds_dp_op_CI_CI_unitstride_sbrr_dirReg
    .private_segment_fixed_size: 0
    .sgpr_count:     34
    .sgpr_spill_count: 0
    .symbol:         fft_rtc_fwd_len972_factors_3_6_3_6_3_wgs_162_tpt_162_halfLds_dp_op_CI_CI_unitstride_sbrr_dirReg.kd
    .uniform_work_group_size: 1
    .uses_dynamic_stack: false
    .vgpr_count:     66
    .vgpr_spill_count: 0
    .wavefront_size: 64
amdhsa.target:   amdgcn-amd-amdhsa--gfx950
amdhsa.version:
  - 1
  - 2
...

	.end_amdgpu_metadata
